;; amdgpu-corpus repo=ggml-org/llama.cpp kind=compiled arch=gfx942 opt=O3
	.text
	.amdgcn_target "amdgcn-amd-amdhsa--gfx942"
	.amdhsa_code_object_version 6
	.section	.text._ZL21gated_linear_attn_f32ILi64EEviiiifPKfS1_S1_S1_S1_Pf,"axG",@progbits,_ZL21gated_linear_attn_f32ILi64EEviiiifPKfS1_S1_S1_S1_Pf,comdat
	.globl	_ZL21gated_linear_attn_f32ILi64EEviiiifPKfS1_S1_S1_S1_Pf ; -- Begin function _ZL21gated_linear_attn_f32ILi64EEviiiifPKfS1_S1_S1_S1_Pf
	.p2align	8
	.type	_ZL21gated_linear_attn_f32ILi64EEviiiifPKfS1_S1_S1_S1_Pf,@function
_ZL21gated_linear_attn_f32ILi64EEviiiifPKfS1_S1_S1_S1_Pf: ; @_ZL21gated_linear_attn_f32ILi64EEviiiifPKfS1_S1_S1_S1_Pf
; %bb.0:
	s_load_dwordx4 s[12:15], s[0:1], 0x0
	s_load_dwordx4 s[8:11], s[0:1], 0x38
	s_abs_i32 s4, s2
	s_waitcnt lgkmcnt(0)
	s_abs_i32 s3, s15
	v_cvt_f32_u32_e32 v1, s3
	s_sub_i32 s6, 0, s3
	s_xor_b32 s5, s2, s15
	s_ashr_i32 s5, s5, 31
	v_rcp_iflag_f32_e32 v1, v1
	s_nop 0
	v_mul_f32_e32 v1, 0x4f7ffffe, v1
	v_cvt_u32_f32_e32 v1, v1
	s_nop 0
	v_readfirstlane_b32 s7, v1
	s_mul_i32 s6, s6, s7
	s_mul_hi_u32 s6, s7, s6
	s_add_i32 s7, s7, s6
	s_mul_hi_u32 s6, s4, s7
	s_mul_i32 s7, s6, s3
	s_sub_i32 s4, s4, s7
	s_add_i32 s16, s6, 1
	s_sub_i32 s7, s4, s3
	s_cmp_ge_u32 s4, s3
	s_cselect_b32 s6, s16, s6
	s_cselect_b32 s4, s7, s4
	s_add_i32 s7, s6, 1
	s_cmp_ge_u32 s4, s3
	s_cselect_b32 s3, s7, s6
	s_xor_b32 s3, s3, s5
	s_sub_i32 s3, s3, s5
	s_mul_i32 s4, s3, s15
	s_mul_i32 s5, s14, s3
	s_sub_i32 s2, s2, s4
	s_lshl_b32 s4, s5, 6
	s_lshl_b32 s5, s2, 12
	s_add_i32 s5, s5, s4
	v_add_u32_e32 v2, s5, v0
	v_ashrrev_i32_e32 v3, 31, v2
	v_lshl_add_u64 v[4:5], v[2:3], 2, s[8:9]
	global_load_dword v66, v[4:5], off
	global_load_dword v67, v[4:5], off offset:256
	global_load_dword v64, v[4:5], off offset:512
	;; [unrolled: 1-line block ×15, first 2 shown]
	v_add_u32_e32 v4, 0x400, v2
	v_add_u32_e32 v14, 0x540, v2
	v_ashrrev_i32_e32 v5, 31, v4
	v_add_u32_e32 v6, 0x440, v2
	v_add_u32_e32 v8, 0x480, v2
	v_add_u32_e32 v10, 0x4c0, v2
	v_add_u32_e32 v12, 0x500, v2
	v_ashrrev_i32_e32 v15, 31, v14
	v_add_u32_e32 v16, 0x580, v2
	v_add_u32_e32 v18, 0x5c0, v2
	v_lshl_add_u64 v[4:5], v[4:5], 2, s[8:9]
	v_ashrrev_i32_e32 v7, 31, v6
	v_ashrrev_i32_e32 v9, 31, v8
	v_ashrrev_i32_e32 v11, 31, v10
	v_ashrrev_i32_e32 v13, 31, v12
	v_lshl_add_u64 v[14:15], v[14:15], 2, s[8:9]
	v_ashrrev_i32_e32 v17, 31, v16
	v_ashrrev_i32_e32 v19, 31, v18
	v_lshl_add_u64 v[6:7], v[6:7], 2, s[8:9]
	v_lshl_add_u64 v[8:9], v[8:9], 2, s[8:9]
	v_lshl_add_u64 v[10:11], v[10:11], 2, s[8:9]
	v_lshl_add_u64 v[12:13], v[12:13], 2, s[8:9]
	v_lshl_add_u64 v[16:17], v[16:17], 2, s[8:9]
	v_lshl_add_u64 v[18:19], v[18:19], 2, s[8:9]
	global_load_dword v50, v[4:5], off
	global_load_dword v51, v[6:7], off
	global_load_dword v48, v[8:9], off
	global_load_dword v49, v[10:11], off
	global_load_dword v46, v[12:13], off
	global_load_dword v47, v[14:15], off
	global_load_dword v44, v[16:17], off
	global_load_dword v45, v[18:19], off
	v_add_u32_e32 v4, 0x600, v2
	v_add_u32_e32 v14, 0x740, v2
	v_ashrrev_i32_e32 v5, 31, v4
	v_add_u32_e32 v6, 0x640, v2
	v_add_u32_e32 v8, 0x680, v2
	v_add_u32_e32 v10, 0x6c0, v2
	v_add_u32_e32 v12, 0x700, v2
	v_ashrrev_i32_e32 v15, 31, v14
	v_add_u32_e32 v16, 0x780, v2
	v_add_u32_e32 v18, 0x7c0, v2
	v_lshl_add_u64 v[4:5], v[4:5], 2, s[8:9]
	v_ashrrev_i32_e32 v7, 31, v6
	v_ashrrev_i32_e32 v9, 31, v8
	v_ashrrev_i32_e32 v11, 31, v10
	v_ashrrev_i32_e32 v13, 31, v12
	v_lshl_add_u64 v[14:15], v[14:15], 2, s[8:9]
	v_ashrrev_i32_e32 v17, 31, v16
	v_ashrrev_i32_e32 v19, 31, v18
	v_lshl_add_u64 v[6:7], v[6:7], 2, s[8:9]
	v_lshl_add_u64 v[8:9], v[8:9], 2, s[8:9]
	v_lshl_add_u64 v[10:11], v[10:11], 2, s[8:9]
	v_lshl_add_u64 v[12:13], v[12:13], 2, s[8:9]
	v_lshl_add_u64 v[16:17], v[16:17], 2, s[8:9]
	v_lshl_add_u64 v[18:19], v[18:19], 2, s[8:9]
	global_load_dword v42, v[4:5], off
	global_load_dword v43, v[6:7], off
	global_load_dword v40, v[8:9], off
	global_load_dword v41, v[10:11], off
	global_load_dword v38, v[12:13], off
	global_load_dword v39, v[14:15], off
	global_load_dword v36, v[16:17], off
	global_load_dword v37, v[18:19], off
	;; [unrolled: 32-line block ×3, first 2 shown]
	v_add_u32_e32 v4, 0xa00, v2
	v_add_u32_e32 v14, 0xb40, v2
	v_ashrrev_i32_e32 v5, 31, v4
	v_add_u32_e32 v6, 0xa40, v2
	v_add_u32_e32 v8, 0xa80, v2
	;; [unrolled: 1-line block ×4, first 2 shown]
	v_ashrrev_i32_e32 v15, 31, v14
	v_add_u32_e32 v16, 0xb80, v2
	v_add_u32_e32 v18, 0xbc0, v2
	v_lshl_add_u64 v[4:5], v[4:5], 2, s[8:9]
	v_ashrrev_i32_e32 v7, 31, v6
	v_ashrrev_i32_e32 v9, 31, v8
	;; [unrolled: 1-line block ×4, first 2 shown]
	v_lshl_add_u64 v[14:15], v[14:15], 2, s[8:9]
	v_ashrrev_i32_e32 v17, 31, v16
	v_ashrrev_i32_e32 v19, 31, v18
	v_lshl_add_u64 v[6:7], v[6:7], 2, s[8:9]
	v_lshl_add_u64 v[8:9], v[8:9], 2, s[8:9]
	;; [unrolled: 1-line block ×6, first 2 shown]
	global_load_dword v26, v[4:5], off
	global_load_dword v27, v[6:7], off
	;; [unrolled: 1-line block ×6, first 2 shown]
                                        ; kill: killed $vgpr8_vgpr9
                                        ; kill: killed $vgpr6_vgpr7
                                        ; kill: killed $vgpr4_vgpr5
                                        ; kill: killed $vgpr14_vgpr15
                                        ; kill: killed $vgpr12_vgpr13
                                        ; kill: killed $vgpr10_vgpr11
	global_load_dword v20, v[16:17], off
	global_load_dword v21, v[18:19], off
	v_add_u32_e32 v14, 0xd40, v2
	v_ashrrev_i32_e32 v15, 31, v14
	v_lshl_add_u64 v[68:69], v[14:15], 2, s[8:9]
	v_add_u32_e32 v14, 0xd80, v2
	v_add_u32_e32 v4, 0xc00, v2
	;; [unrolled: 1-line block ×4, first 2 shown]
	v_ashrrev_i32_e32 v15, 31, v14
	v_ashrrev_i32_e32 v5, 31, v4
	v_add_u32_e32 v6, 0xc40, v2
	v_add_u32_e32 v8, 0xc80, v2
	v_ashrrev_i32_e32 v11, 31, v10
	v_ashrrev_i32_e32 v13, 31, v12
	v_lshl_add_u64 v[70:71], v[14:15], 2, s[8:9]
	v_add_u32_e32 v14, 0xdc0, v2
	v_lshl_add_u64 v[4:5], v[4:5], 2, s[8:9]
	v_ashrrev_i32_e32 v7, 31, v6
	v_ashrrev_i32_e32 v9, 31, v8
	v_lshl_add_u64 v[10:11], v[10:11], 2, s[8:9]
	v_lshl_add_u64 v[12:13], v[12:13], 2, s[8:9]
	v_ashrrev_i32_e32 v15, 31, v14
	v_lshl_add_u64 v[6:7], v[6:7], 2, s[8:9]
	v_lshl_add_u64 v[8:9], v[8:9], 2, s[8:9]
	;; [unrolled: 1-line block ×3, first 2 shown]
	global_load_dword v18, v[4:5], off
	global_load_dword v19, v[6:7], off
	;; [unrolled: 1-line block ×6, first 2 shown]
                                        ; kill: killed $vgpr68_vgpr69
                                        ; kill: killed $vgpr12_vgpr13
	s_nop 0
	global_load_dword v12, v[70:71], off
	global_load_dword v13, v[72:73], off
	v_add_u32_e32 v10, 0xec0, v2
	v_ashrrev_i32_e32 v11, 31, v10
	v_lshl_add_u64 v[68:69], v[10:11], 2, s[8:9]
	v_add_u32_e32 v10, 0xf00, v2
	v_ashrrev_i32_e32 v11, 31, v10
	v_lshl_add_u64 v[70:71], v[10:11], 2, s[8:9]
	;; [unrolled: 3-line block ×3, first 2 shown]
	v_add_u32_e32 v10, 0xf80, v2
	v_add_u32_e32 v4, 0xe00, v2
	;; [unrolled: 1-line block ×4, first 2 shown]
	v_ashrrev_i32_e32 v11, 31, v10
	v_ashrrev_i32_e32 v5, 31, v4
	;; [unrolled: 1-line block ×4, first 2 shown]
	v_lshl_add_u64 v[74:75], v[10:11], 2, s[8:9]
	v_add_u32_e32 v10, 0xfc0, v2
	v_lshl_add_u64 v[4:5], v[4:5], 2, s[8:9]
	v_lshl_add_u64 v[6:7], v[6:7], 2, s[8:9]
	;; [unrolled: 1-line block ×3, first 2 shown]
	v_ashrrev_i32_e32 v11, 31, v10
	v_lshl_add_u64 v[76:77], v[10:11], 2, s[8:9]
	global_load_dword v10, v[4:5], off
	global_load_dword v11, v[6:7], off
	s_nop 0
	global_load_dword v8, v[8:9], off
	s_nop 0
	global_load_dword v9, v[68:69], off
	global_load_dword v6, v[70:71], off
	;; [unrolled: 1-line block ×5, first 2 shown]
	s_abs_i32 s4, s12
	v_cvt_f32_u32_e32 v1, s4
	s_sub_i32 s8, 0, s4
	s_abs_i32 s7, s13
	s_xor_b32 s6, s13, s12
	v_rcp_iflag_f32_e32 v1, v1
	s_ashr_i32 s6, s6, 31
	v_mul_f32_e32 v1, 0x4f7ffffe, v1
	v_cvt_u32_f32_e32 v1, v1
	s_nop 0
	v_readfirstlane_b32 s5, v1
	s_mul_i32 s8, s8, s5
	s_mul_hi_u32 s8, s5, s8
	s_add_i32 s5, s5, s8
	s_mul_hi_u32 s5, s7, s5
	s_mul_i32 s8, s5, s4
	s_sub_i32 s7, s7, s8
	s_add_i32 s8, s5, 1
	s_sub_i32 s9, s7, s4
	s_cmp_ge_u32 s7, s4
	s_cselect_b32 s5, s8, s5
	s_cselect_b32 s7, s9, s7
	s_add_i32 s8, s5, 1
	s_cmp_ge_u32 s7, s4
	s_cselect_b32 s4, s8, s5
	s_xor_b32 s4, s4, s6
	s_sub_i32 s4, s4, s6
	s_mul_i32 s4, s4, s14
	s_mul_i32 s5, s4, s3
	s_add_i32 s3, s3, 1
	s_mul_i32 s4, s4, s3
	v_lshl_add_u32 v1, s2, 6, v0
	v_add_u32_e32 v3, s4, v1
	v_add_u32_e32 v68, s5, v1
	v_cmp_lt_i32_e32 vcc, v68, v3
	s_and_saveexec_b64 s[8:9], vcc
	s_cbranch_execz .LBB0_4
; %bb.1:
	s_load_dword s12, s[0:1], 0x10
	s_nop 0
	s_load_dwordx8 s[0:7], s[0:1], 0x18
	v_lshlrev_b32_e32 v70, 2, v0
	v_ashrrev_i32_e32 v69, 31, v68
	s_ashr_i32 s15, s14, 31
	v_add_u32_e32 v71, 0x100, v70
	v_add_u32_e32 v72, 0x200, v70
	v_lshlrev_b64 v[0:1], 2, v[68:69]
	s_lshl_b64 s[18:19], s[14:15], 2
	s_mov_b64 s[16:17], 0
	v_mov_b32_e32 v69, 0
.LBB0_2:                                ; =>This Inner Loop Header: Depth=1
	s_waitcnt lgkmcnt(0)
	v_lshl_add_u64 v[74:75], s[0:1], 0, v[0:1]
	s_waitcnt vmcnt(63) expcnt(7) lgkmcnt(15)
	s_barrier
	global_load_dword v73, v[74:75], off
	v_lshl_add_u64 v[74:75], s[4:5], 0, v[0:1]
	global_load_dword v76, v[74:75], off
	v_lshl_add_u64 v[74:75], s[6:7], 0, v[0:1]
	global_load_dword v74, v[74:75], off
	v_add_u32_e32 v68, s14, v68
	v_cmp_ge_i32_e32 vcc, v68, v3
	s_or_b64 s[16:17], vcc, s[16:17]
	s_waitcnt vmcnt(2)
	ds_write_b32 v70, v73
	s_waitcnt vmcnt(1)
	ds_write_b32 v71, v76
	;; [unrolled: 2-line block ×3, first 2 shown]
	s_waitcnt lgkmcnt(0)
	s_barrier
	ds_read_b128 v[74:77], v69 offset:512
	ds_read_b128 v[78:81], v69 offset:528
	s_waitcnt lgkmcnt(1)
	v_pk_mul_f32 v[66:67], v[66:67], v[74:75]
	v_pk_mul_f32 v[64:65], v[64:65], v[76:77]
	s_waitcnt lgkmcnt(0)
	v_pk_mul_f32 v[62:63], v[62:63], v[78:79]
	v_pk_mul_f32 v[60:61], v[60:61], v[80:81]
	ds_read_b128 v[74:77], v69 offset:544
	ds_read_b128 v[78:81], v69 offset:560
	s_waitcnt lgkmcnt(1)
	v_pk_mul_f32 v[58:59], v[58:59], v[74:75]
	v_pk_mul_f32 v[56:57], v[56:57], v[76:77]
	s_waitcnt lgkmcnt(0)
	v_pk_mul_f32 v[54:55], v[54:55], v[78:79]
	v_pk_mul_f32 v[52:53], v[52:53], v[80:81]
	;; [unrolled: 8-line block ×7, first 2 shown]
	ds_read_b128 v[12:15], v69 offset:736
	ds_read_b128 v[74:77], v69 offset:752
	s_waitcnt lgkmcnt(1)
	v_pk_mul_f32 v[82:83], v[10:11], v[12:13]
	s_waitcnt lgkmcnt(0)
	v_pk_mul_f32 v[88:89], v[4:5], v[76:77]
	v_lshl_add_u64 v[4:5], s[2:3], 0, v[0:1]
	global_load_dword v90, v[4:5], off
	v_pk_mul_f32 v[84:85], v[8:9], v[14:15]
	v_pk_mul_f32 v[86:87], v[6:7], v[74:75]
	ds_read_b128 v[4:7], v69
	ds_read_b128 v[8:11], v69 offset:16
	s_waitcnt vmcnt(0) lgkmcnt(1)
	v_pk_fma_f32 v[66:67], v[90:91], v[4:5], v[66:67] op_sel_hi:[0,1,1]
	v_pk_fma_f32 v[64:65], v[90:91], v[6:7], v[64:65] op_sel_hi:[0,1,1]
	s_waitcnt lgkmcnt(0)
	v_pk_fma_f32 v[62:63], v[90:91], v[8:9], v[62:63] op_sel_hi:[0,1,1]
	v_pk_fma_f32 v[60:61], v[90:91], v[10:11], v[60:61] op_sel_hi:[0,1,1]
	ds_read_b128 v[4:7], v69 offset:32
	ds_read_b128 v[8:11], v69 offset:48
	s_waitcnt lgkmcnt(1)
	v_pk_fma_f32 v[58:59], v[90:91], v[4:5], v[58:59] op_sel_hi:[0,1,1]
	v_pk_fma_f32 v[56:57], v[90:91], v[6:7], v[56:57] op_sel_hi:[0,1,1]
	s_waitcnt lgkmcnt(0)
	v_pk_fma_f32 v[54:55], v[90:91], v[8:9], v[54:55] op_sel_hi:[0,1,1]
	v_pk_fma_f32 v[52:53], v[90:91], v[10:11], v[52:53] op_sel_hi:[0,1,1]
	ds_read_b128 v[4:7], v69 offset:64
	ds_read_b128 v[8:11], v69 offset:80
	s_waitcnt lgkmcnt(1)
	;; [unrolled: 8-line block ×6, first 2 shown]
	v_pk_fma_f32 v[18:19], v[90:91], v[4:5], v[18:19] op_sel_hi:[0,1,1]
	v_pk_fma_f32 v[16:17], v[90:91], v[6:7], v[16:17] op_sel_hi:[0,1,1]
	ds_read_b128 v[4:7], v69 offset:224
	ds_read_b128 v[74:77], v69 offset:240
	s_waitcnt lgkmcnt(2)
	v_pk_fma_f32 v[14:15], v[90:91], v[8:9], v[78:79] op_sel_hi:[0,1,1]
	v_pk_fma_f32 v[12:13], v[90:91], v[10:11], v[80:81] op_sel_hi:[0,1,1]
	s_waitcnt lgkmcnt(1)
	v_pk_fma_f32 v[10:11], v[90:91], v[4:5], v[82:83] op_sel_hi:[0,1,1]
	v_pk_fma_f32 v[8:9], v[90:91], v[6:7], v[84:85] op_sel_hi:[0,1,1]
	;; [unrolled: 3-line block ×3, first 2 shown]
	ds_read_b128 v[74:77], v69 offset:256
	ds_read_b128 v[78:81], v69 offset:272
	s_waitcnt lgkmcnt(1)
	v_fma_f32 v73, v66, v74, 0
	v_fmac_f32_e32 v73, v67, v75
	v_fmac_f32_e32 v73, v64, v76
	v_fmac_f32_e32 v73, v65, v77
	s_waitcnt lgkmcnt(0)
	v_fmac_f32_e32 v73, v62, v78
	v_fmac_f32_e32 v73, v63, v79
	v_fmac_f32_e32 v73, v60, v80
	v_fmac_f32_e32 v73, v61, v81
	ds_read_b128 v[74:77], v69 offset:288
	ds_read_b128 v[78:81], v69 offset:304
	s_waitcnt lgkmcnt(1)
	v_fmac_f32_e32 v73, v58, v74
	v_fmac_f32_e32 v73, v59, v75
	v_fmac_f32_e32 v73, v56, v76
	v_fmac_f32_e32 v73, v57, v77
	s_waitcnt lgkmcnt(0)
	v_fmac_f32_e32 v73, v54, v78
	v_fmac_f32_e32 v73, v55, v79
	v_fmac_f32_e32 v73, v52, v80
	v_fmac_f32_e32 v73, v53, v81
	ds_read_b128 v[74:77], v69 offset:320
	ds_read_b128 v[78:81], v69 offset:336
	s_waitcnt lgkmcnt(1)
	v_fmac_f32_e32 v73, v50, v74
	;; [unrolled: 12-line block ×7, first 2 shown]
	v_fmac_f32_e32 v73, v11, v75
	v_fmac_f32_e32 v73, v8, v76
	;; [unrolled: 1-line block ×3, first 2 shown]
	s_waitcnt lgkmcnt(0)
	v_fmac_f32_e32 v73, v6, v78
	v_fmac_f32_e32 v73, v7, v79
	;; [unrolled: 1-line block ×4, first 2 shown]
	v_lshl_add_u64 v[74:75], s[10:11], 0, v[0:1]
	v_lshl_add_u64 v[0:1], v[0:1], 0, s[18:19]
	v_mul_f32_e32 v73, s12, v73
	global_store_dword v[74:75], v73, off
	s_andn2_b64 exec, exec, s[16:17]
	s_cbranch_execnz .LBB0_2
; %bb.3:
	s_or_b64 exec, exec, s[16:17]
.LBB0_4:
	s_or_b64 exec, exec, s[8:9]
	s_mul_i32 s0, s14, s13
	v_add_u32_e32 v0, s0, v2
	v_ashrrev_i32_e32 v1, 31, v0
	v_lshl_add_u64 v[2:3], v[0:1], 2, s[10:11]
	s_waitcnt vmcnt(62)
	global_store_dword v[2:3], v66, off
	global_store_dword v[2:3], v67, off offset:256
	s_waitcnt vmcnt(62)
	global_store_dword v[2:3], v64, off offset:512
	global_store_dword v[2:3], v65, off offset:768
	s_waitcnt vmcnt(62)
	global_store_dword v[2:3], v62, off offset:1024
	;; [unrolled: 3-line block ×7, first 2 shown]
	global_store_dword v[2:3], v53, off offset:3840
	v_add_u32_e32 v2, 0x400, v0
	v_ashrrev_i32_e32 v3, 31, v2
	v_lshl_add_u64 v[2:3], v[2:3], 2, s[10:11]
	s_waitcnt vmcnt(62)
	global_store_dword v[2:3], v50, off
	v_add_u32_e32 v2, 0x440, v0
	v_ashrrev_i32_e32 v3, 31, v2
	v_lshl_add_u64 v[2:3], v[2:3], 2, s[10:11]
	global_store_dword v[2:3], v51, off
	v_add_u32_e32 v2, 0x480, v0
	v_ashrrev_i32_e32 v3, 31, v2
	v_lshl_add_u64 v[2:3], v[2:3], 2, s[10:11]
	s_waitcnt vmcnt(62)
	global_store_dword v[2:3], v48, off
	v_add_u32_e32 v2, 0x4c0, v0
	v_ashrrev_i32_e32 v3, 31, v2
	v_lshl_add_u64 v[2:3], v[2:3], 2, s[10:11]
	global_store_dword v[2:3], v49, off
	;; [unrolled: 9-line block ×23, first 2 shown]
	v_add_u32_e32 v2, 0xf80, v0
	v_add_u32_e32 v0, 0xfc0, v0
	v_ashrrev_i32_e32 v3, 31, v2
	v_ashrrev_i32_e32 v1, 31, v0
	v_lshl_add_u64 v[2:3], v[2:3], 2, s[10:11]
	v_lshl_add_u64 v[0:1], v[0:1], 2, s[10:11]
	s_waitcnt vmcnt(62)
	global_store_dword v[2:3], v4, off
	global_store_dword v[0:1], v5, off
	s_endpgm
	.section	.rodata,"a",@progbits
	.p2align	6, 0x0
	.amdhsa_kernel _ZL21gated_linear_attn_f32ILi64EEviiiifPKfS1_S1_S1_S1_Pf
		.amdhsa_group_segment_fixed_size 768
		.amdhsa_private_segment_fixed_size 0
		.amdhsa_kernarg_size 72
		.amdhsa_user_sgpr_count 2
		.amdhsa_user_sgpr_dispatch_ptr 0
		.amdhsa_user_sgpr_queue_ptr 0
		.amdhsa_user_sgpr_kernarg_segment_ptr 1
		.amdhsa_user_sgpr_dispatch_id 0
		.amdhsa_user_sgpr_kernarg_preload_length 0
		.amdhsa_user_sgpr_kernarg_preload_offset 0
		.amdhsa_user_sgpr_private_segment_size 0
		.amdhsa_uses_dynamic_stack 0
		.amdhsa_enable_private_segment 0
		.amdhsa_system_sgpr_workgroup_id_x 1
		.amdhsa_system_sgpr_workgroup_id_y 0
		.amdhsa_system_sgpr_workgroup_id_z 0
		.amdhsa_system_sgpr_workgroup_info 0
		.amdhsa_system_vgpr_workitem_id 0
		.amdhsa_next_free_vgpr 92
		.amdhsa_next_free_sgpr 20
		.amdhsa_accum_offset 92
		.amdhsa_reserve_vcc 1
		.amdhsa_float_round_mode_32 0
		.amdhsa_float_round_mode_16_64 0
		.amdhsa_float_denorm_mode_32 3
		.amdhsa_float_denorm_mode_16_64 3
		.amdhsa_dx10_clamp 1
		.amdhsa_ieee_mode 1
		.amdhsa_fp16_overflow 0
		.amdhsa_tg_split 0
		.amdhsa_exception_fp_ieee_invalid_op 0
		.amdhsa_exception_fp_denorm_src 0
		.amdhsa_exception_fp_ieee_div_zero 0
		.amdhsa_exception_fp_ieee_overflow 0
		.amdhsa_exception_fp_ieee_underflow 0
		.amdhsa_exception_fp_ieee_inexact 0
		.amdhsa_exception_int_div_zero 0
	.end_amdhsa_kernel
	.section	.text._ZL21gated_linear_attn_f32ILi64EEviiiifPKfS1_S1_S1_S1_Pf,"axG",@progbits,_ZL21gated_linear_attn_f32ILi64EEviiiifPKfS1_S1_S1_S1_Pf,comdat
.Lfunc_end0:
	.size	_ZL21gated_linear_attn_f32ILi64EEviiiifPKfS1_S1_S1_S1_Pf, .Lfunc_end0-_ZL21gated_linear_attn_f32ILi64EEviiiifPKfS1_S1_S1_S1_Pf
                                        ; -- End function
	.section	.AMDGPU.csdata,"",@progbits
; Kernel info:
; codeLenInByte = 5032
; NumSgprs: 26
; NumVgprs: 92
; NumAgprs: 0
; TotalNumVgprs: 92
; ScratchSize: 0
; MemoryBound: 0
; FloatMode: 240
; IeeeMode: 1
; LDSByteSize: 768 bytes/workgroup (compile time only)
; SGPRBlocks: 3
; VGPRBlocks: 11
; NumSGPRsForWavesPerEU: 26
; NumVGPRsForWavesPerEU: 92
; AccumOffset: 92
; Occupancy: 5
; WaveLimiterHint : 1
; COMPUTE_PGM_RSRC2:SCRATCH_EN: 0
; COMPUTE_PGM_RSRC2:USER_SGPR: 2
; COMPUTE_PGM_RSRC2:TRAP_HANDLER: 0
; COMPUTE_PGM_RSRC2:TGID_X_EN: 1
; COMPUTE_PGM_RSRC2:TGID_Y_EN: 0
; COMPUTE_PGM_RSRC2:TGID_Z_EN: 0
; COMPUTE_PGM_RSRC2:TIDIG_COMP_CNT: 0
; COMPUTE_PGM_RSRC3_GFX90A:ACCUM_OFFSET: 22
; COMPUTE_PGM_RSRC3_GFX90A:TG_SPLIT: 0
	.section	.text._ZL21gated_linear_attn_f32ILi128EEviiiifPKfS1_S1_S1_S1_Pf,"axG",@progbits,_ZL21gated_linear_attn_f32ILi128EEviiiifPKfS1_S1_S1_S1_Pf,comdat
	.globl	_ZL21gated_linear_attn_f32ILi128EEviiiifPKfS1_S1_S1_S1_Pf ; -- Begin function _ZL21gated_linear_attn_f32ILi128EEviiiifPKfS1_S1_S1_S1_Pf
	.p2align	8
	.type	_ZL21gated_linear_attn_f32ILi128EEviiiifPKfS1_S1_S1_S1_Pf,@function
_ZL21gated_linear_attn_f32ILi128EEviiiifPKfS1_S1_S1_S1_Pf: ; @_ZL21gated_linear_attn_f32ILi128EEviiiifPKfS1_S1_S1_S1_Pf
; %bb.0:
	s_load_dwordx4 s[12:15], s[0:1], 0x0
	s_load_dwordx4 s[8:11], s[0:1], 0x38
	v_mov_b32_e32 v6, v0
	s_abs_i32 s4, s2
	s_waitcnt lgkmcnt(0)
	s_abs_i32 s5, s15
	v_cvt_f32_u32_e32 v0, s5
	s_sub_i32 s6, 0, s5
	s_xor_b32 s3, s2, s15
	s_ashr_i32 s3, s3, 31
	v_rcp_iflag_f32_e32 v0, v0
	s_nop 0
	v_mul_f32_e32 v0, 0x4f7ffffe, v0
	v_cvt_u32_f32_e32 v0, v0
	s_nop 0
	v_readfirstlane_b32 s7, v0
	s_mul_i32 s6, s6, s7
	s_mul_hi_u32 s6, s7, s6
	s_add_i32 s7, s7, s6
	s_mul_hi_u32 s6, s4, s7
	s_mul_i32 s7, s6, s5
	s_sub_i32 s4, s4, s7
	s_add_i32 s7, s6, 1
	s_sub_i32 s16, s4, s5
	s_cmp_ge_u32 s4, s5
	s_cselect_b32 s6, s7, s6
	s_cselect_b32 s4, s16, s4
	s_add_i32 s7, s6, 1
	s_cmp_ge_u32 s4, s5
	s_cselect_b32 s4, s7, s6
	s_xor_b32 s4, s4, s3
	s_sub_i32 s3, s4, s3
	s_mul_i32 s4, s3, s15
	s_sub_i32 s2, s2, s4
	s_mul_i32 s4, s14, s3
	s_lshl_b32 s4, s4, 7
	s_lshl_b32 s5, s2, 14
	s_add_i32 s5, s5, s4
	v_add_u32_e32 v2, s5, v6
	v_ashrrev_i32_e32 v3, 31, v2
	v_lshl_add_u64 v[0:1], v[2:3], 2, s[8:9]
	global_load_dword v48, v[0:1], off
	global_load_dword v49, v[0:1], off offset:512
	global_load_dword v124, v[0:1], off offset:1024
	;; [unrolled: 1-line block ×7, first 2 shown]
	v_add_u32_e32 v0, 0x400, v2
	v_ashrrev_i32_e32 v1, 31, v0
	v_lshl_add_u64 v[0:1], v[0:1], 2, s[8:9]
	global_load_dword v56, v[0:1], off
	v_add_u32_e32 v0, 0x480, v2
	v_ashrrev_i32_e32 v1, 31, v0
	v_lshl_add_u64 v[0:1], v[0:1], 2, s[8:9]
	global_load_dword v57, v[0:1], off
	;; [unrolled: 4-line block ×62, first 2 shown]
	v_add_u32_e32 v0, 0x2300, v2
	v_ashrrev_i32_e32 v1, 31, v0
	v_lshl_add_u64 v[0:1], v[0:1], 2, s[8:9]
	s_abs_i32 s6, s12
	s_sub_i32 s7, 0, s6
	s_abs_i32 s5, s13
	s_xor_b32 s4, s13, s12
	s_ashr_i32 s4, s4, 31
	s_waitcnt vmcnt(4)
	scratch_store_dwordx2 off, v[4:5], off offset:72 ; 8-byte Folded Spill
	global_load_dword v4, v[0:1], off
	v_add_u32_e32 v0, 0x2380, v2
	v_ashrrev_i32_e32 v1, 31, v0
	v_lshl_add_u64 v[0:1], v[0:1], 2, s[8:9]
	global_load_dword v5, v[0:1], off
	v_add_u32_e32 v0, 0x2400, v2
	v_ashrrev_i32_e32 v1, 31, v0
	v_lshl_add_u64 v[0:1], v[0:1], 2, s[8:9]
	;; [unrolled: 4-line block ×18, first 2 shown]
	s_waitcnt vmcnt(16)
	scratch_store_dwordx2 off, v[4:5], off offset:80 ; 8-byte Folded Spill
	global_load_dword v4, v[0:1], off
	v_add_u32_e32 v0, 0x2c80, v2
	v_ashrrev_i32_e32 v1, 31, v0
	v_lshl_add_u64 v[0:1], v[0:1], 2, s[8:9]
	global_load_dword v5, v[0:1], off
	v_add_u32_e32 v0, 0x2d00, v2
	v_ashrrev_i32_e32 v1, 31, v0
	v_lshl_add_u64 v[0:1], v[0:1], 2, s[8:9]
	global_load_dword v94, v[0:1], off
	v_add_u32_e32 v0, 0x2d80, v2
	v_ashrrev_i32_e32 v1, 31, v0
	v_lshl_add_u64 v[0:1], v[0:1], 2, s[8:9]
	global_load_dword v95, v[0:1], off
	v_add_u32_e32 v0, 0x2e00, v2
	v_ashrrev_i32_e32 v1, 31, v0
	v_lshl_add_u64 v[0:1], v[0:1], 2, s[8:9]
	s_waitcnt vmcnt(2)
	scratch_store_dwordx2 off, v[4:5], off offset:64 ; 8-byte Folded Spill
	global_load_dword v4, v[0:1], off
	v_add_u32_e32 v0, 0x2e80, v2
	v_ashrrev_i32_e32 v1, 31, v0
	v_lshl_add_u64 v[0:1], v[0:1], 2, s[8:9]
	global_load_dword v5, v[0:1], off
	v_add_u32_e32 v0, 0x2f00, v2
	v_ashrrev_i32_e32 v1, 31, v0
	v_lshl_add_u64 v[0:1], v[0:1], 2, s[8:9]
	global_load_dword v74, v[0:1], off
	v_add_u32_e32 v0, 0x2f80, v2
	v_ashrrev_i32_e32 v1, 31, v0
	v_lshl_add_u64 v[0:1], v[0:1], 2, s[8:9]
	global_load_dword v75, v[0:1], off
	v_add_u32_e32 v0, 0x3000, v2
	v_ashrrev_i32_e32 v1, 31, v0
	v_lshl_add_u64 v[0:1], v[0:1], 2, s[8:9]
	;; [unrolled: 18-line block ×8, first 2 shown]
	global_load_dword v30, v[0:1], off
	v_add_u32_e32 v0, 0x3c80, v2
	v_ashrrev_i32_e32 v1, 31, v0
	v_lshl_add_u64 v[0:1], v[0:1], 2, s[8:9]
	global_load_dword v31, v[0:1], off
	v_add_u32_e32 v0, 0x3d00, v2
	v_ashrrev_i32_e32 v1, 31, v0
	v_lshl_add_u64 v[0:1], v[0:1], 2, s[8:9]
	s_waitcnt vmcnt(4)
	scratch_store_dwordx2 off, v[4:5], off offset:8 ; 8-byte Folded Spill
	global_load_dword v4, v[0:1], off
	v_add_u32_e32 v0, 0x3d80, v2
	v_ashrrev_i32_e32 v1, 31, v0
	v_lshl_add_u64 v[0:1], v[0:1], 2, s[8:9]
	global_load_dword v5, v[0:1], off
	v_add_u32_e32 v0, 0x3e00, v2
	v_ashrrev_i32_e32 v1, 31, v0
	v_lshl_add_u64 v[0:1], v[0:1], 2, s[8:9]
	;; [unrolled: 4-line block ×5, first 2 shown]
	global_load_dword v9, v[0:1], off
	v_cvt_f32_u32_e32 v0, s6
	v_rcp_iflag_f32_e32 v0, v0
	s_nop 0
	v_mul_f32_e32 v0, 0x4f7ffffe, v0
	v_cvt_u32_f32_e32 v0, v0
	s_waitcnt vmcnt(4)
	scratch_store_dwordx2 off, v[4:5], off  ; 8-byte Folded Spill
	v_readfirstlane_b32 s8, v0
	s_mul_i32 s7, s7, s8
	s_mul_hi_u32 s7, s8, s7
	s_add_i32 s8, s8, s7
	s_mul_hi_u32 s7, s5, s8
	s_mul_i32 s8, s7, s6
	s_sub_i32 s5, s5, s8
	s_add_i32 s8, s7, 1
	s_sub_i32 s9, s5, s6
	s_cmp_ge_u32 s5, s6
	s_cselect_b32 s7, s8, s7
	s_cselect_b32 s5, s9, s5
	s_add_i32 s8, s7, 1
	s_cmp_ge_u32 s5, s6
	s_cselect_b32 s5, s8, s7
	s_xor_b32 s5, s5, s4
	s_sub_i32 s4, s5, s4
	s_mul_i32 s4, s4, s14
	s_mul_i32 s5, s4, s3
	s_add_i32 s3, s3, 1
	v_lshl_add_u32 v0, s2, 7, v6
	s_mul_i32 s4, s4, s3
	v_add_u32_e32 v52, s5, v0
	v_add_u32_e32 v0, s4, v0
	v_cmp_lt_i32_e32 vcc, v52, v0
	s_and_saveexec_b64 s[8:9], vcc
	s_cbranch_execz .LBB1_4
; %bb.1:
	scratch_store_dwordx2 off, v[2:3], off offset:208 ; 8-byte Folded Spill
	s_load_dword s12, s[0:1], 0x10
	s_nop 0
	s_load_dwordx8 s[0:7], s[0:1], 0x18
	v_lshlrev_b32_e32 v1, 2, v6
	v_add_u32_e32 v2, 0x200, v1
	v_ashrrev_i32_e32 v53, 31, v52
	s_ashr_i32 s15, s14, 31
	scratch_store_dword off, v2, off offset:200 ; 4-byte Folded Spill
	scratch_store_dword off, v1, off offset:196 ; 4-byte Folded Spill
	v_add_u32_e32 v1, 0x400, v1
	v_lshlrev_b64 v[6:7], 2, v[52:53]
	s_lshl_b64 s[18:19], s[14:15], 2
	s_mov_b64 s[16:17], 0
	v_mov_b32_e32 v53, 0
	scratch_store_dword off, v1, off offset:204 ; 4-byte Folded Spill
	scratch_store_dword off, v0, off offset:192 ; 4-byte Folded Spill
.LBB1_2:                                ; =>This Inner Loop Header: Depth=1
	s_waitcnt lgkmcnt(0)
	v_lshl_add_u64 v[0:1], s[0:1], 0, v[6:7]
	s_barrier
	global_load_dword v2, v[0:1], off
	v_lshl_add_u64 v[0:1], s[4:5], 0, v[6:7]
	global_load_dword v3, v[0:1], off
	v_lshl_add_u64 v[0:1], s[6:7], 0, v[6:7]
	global_load_dword v0, v[0:1], off
	s_nop 0
	scratch_load_dword v1, off, off offset:196 ; 4-byte Folded Reload
	s_waitcnt vmcnt(12)
	v_mov_b64_e32 v[4:5], v[10:11]
	s_waitcnt vmcnt(10)
	v_mov_b64_e32 v[50:51], v[8:9]
	v_add_u32_e32 v52, s14, v52
	s_waitcnt vmcnt(0)
	ds_write_b32 v1, v2
	scratch_load_dword v1, off, off offset:200 ; 4-byte Folded Reload
	s_waitcnt vmcnt(0)
	ds_write_b32 v1, v3
	scratch_load_dword v1, off, off offset:204 ; 4-byte Folded Reload
	s_waitcnt vmcnt(0)
	ds_write_b32 v1, v0
	s_waitcnt lgkmcnt(0)
	s_barrier
	ds_read_b128 v[8:11], v53 offset:1024
	s_waitcnt lgkmcnt(0)
	v_pk_mul_f32 v[0:1], v[48:49], v[8:9]
	scratch_store_dwordx2 off, v[0:1], off offset:136 ; 8-byte Folded Spill
	v_pk_mul_f32 v[0:1], v[124:125], v[10:11]
	ds_read_b128 v[8:11], v53 offset:1040
	scratch_store_dwordx2 off, v[0:1], off offset:88 ; 8-byte Folded Spill
	s_waitcnt lgkmcnt(0)
	v_pk_mul_f32 v[48:49], v[116:117], v[8:9]
	v_pk_mul_f32 v[0:1], v[114:115], v[10:11]
	ds_read_b128 v[8:11], v53 offset:1056
	scratch_store_dwordx2 off, v[0:1], off offset:144 ; 8-byte Folded Spill
	s_waitcnt lgkmcnt(0)
	v_pk_mul_f32 v[124:125], v[56:57], v[8:9]
	;; [unrolled: 5-line block ×4, first 2 shown]
	scratch_store_dwordx2 off, v[0:1], off offset:160 ; 8-byte Folded Spill
	scratch_load_dwordx2 v[0:1], off, off offset:72 ; 8-byte Folded Reload
	v_pk_mul_f32 v[118:119], v[118:119], v[10:11]
	ds_read_b128 v[8:11], v53 offset:1104
	s_waitcnt lgkmcnt(0)
	v_pk_mul_f32 v[116:117], v[98:99], v[8:9]
	v_pk_mul_f32 v[112:113], v[12:13], v[10:11]
	ds_read_b128 v[8:11], v53 offset:1120
	s_waitcnt lgkmcnt(0)
	v_pk_mul_f32 v[108:109], v[96:97], v[8:9]
	;; [unrolled: 4-line block ×11, first 2 shown]
	v_pk_mul_f32 v[70:71], v[64:65], v[10:11]
	ds_read_b128 v[8:11], v53 offset:1280
	s_waitcnt vmcnt(0) lgkmcnt(0)
	v_pk_mul_f32 v[68:69], v[0:1], v[8:9]
	scratch_load_dwordx2 v[0:1], off, off offset:80 ; 8-byte Folded Reload
	v_pk_mul_f32 v[66:67], v[60:61], v[10:11]
	ds_read_b128 v[8:11], v53 offset:1296
	s_waitcnt lgkmcnt(0)
	v_pk_mul_f32 v[64:65], v[40:41], v[8:9]
	s_waitcnt vmcnt(0)
	v_pk_mul_f32 v[62:63], v[0:1], v[10:11]
	ds_read_b128 v[8:11], v53 offset:1312
	s_waitcnt lgkmcnt(0)
	v_pk_mul_f32 v[0:1], v[32:33], v[8:9]
	v_pk_mul_f32 v[60:61], v[36:37], v[10:11]
	ds_read_b128 v[8:11], v53 offset:1328
	scratch_store_dwordx2 off, v[0:1], off offset:96 ; 8-byte Folded Spill
	s_waitcnt lgkmcnt(0)
	v_pk_mul_f32 v[0:1], v[24:25], v[8:9]
	scratch_store_dwordx2 off, v[0:1], off offset:104 ; 8-byte Folded Spill
	v_pk_mul_f32 v[0:1], v[28:29], v[10:11]
	ds_read_b128 v[8:11], v53 offset:1344
	scratch_store_dwordx2 off, v[0:1], off offset:112 ; 8-byte Folded Spill
	s_waitcnt lgkmcnt(0)
	v_pk_mul_f32 v[0:1], v[16:17], v[8:9]
	scratch_store_dwordx2 off, v[0:1], off offset:120 ; 8-byte Folded Spill
	v_pk_mul_f32 v[0:1], v[20:21], v[10:11]
	scratch_store_dwordx2 off, v[0:1], off offset:128 ; 8-byte Folded Spill
	scratch_load_dwordx2 v[0:1], off, off offset:64 ; 8-byte Folded Reload
	ds_read_b128 v[8:11], v53 offset:1360
	s_waitcnt lgkmcnt(0)
	v_pk_mul_f32 v[54:55], v[76:77], v[8:9]
	v_pk_mul_f32 v[46:47], v[120:121], v[10:11]
	ds_read_b128 v[8:11], v53 offset:1376
	s_waitcnt vmcnt(0) lgkmcnt(0)
	v_pk_mul_f32 v[58:59], v[0:1], v[8:9]
	v_pk_mul_f32 v[0:1], v[94:95], v[10:11]
	scratch_store_dwordx2 off, v[0:1], off offset:64 ; 8-byte Folded Spill
	scratch_load_dwordx2 v[0:1], off, off offset:56 ; 8-byte Folded Reload
	ds_read_b128 v[8:11], v53 offset:1392
	s_waitcnt vmcnt(0) lgkmcnt(0)
	v_pk_mul_f32 v[44:45], v[0:1], v[8:9]
	v_pk_mul_f32 v[0:1], v[74:75], v[10:11]
	scratch_store_dwordx2 off, v[0:1], off offset:56 ; 8-byte Folded Spill
	scratch_load_dwordx2 v[0:1], off, off offset:48 ; 8-byte Folded Reload
	;; [unrolled: 6-line block ×4, first 2 shown]
	ds_read_b128 v[8:11], v53 offset:1440
	scratch_load_dwordx2 v[38:39], off, off offset:160 ; 8-byte Folded Reload
	s_waitcnt vmcnt(1) lgkmcnt(0)
	v_pk_mul_f32 v[32:33], v[0:1], v[8:9]
	v_pk_mul_f32 v[0:1], v[42:43], v[10:11]
	scratch_store_dwordx2 off, v[0:1], off offset:32 ; 8-byte Folded Spill
	scratch_load_dwordx2 v[0:1], off, off offset:24 ; 8-byte Folded Reload
	ds_read_b128 v[8:11], v53 offset:1456
	s_waitcnt vmcnt(0) lgkmcnt(0)
	v_pk_mul_f32 v[28:29], v[0:1], v[8:9]
	v_pk_mul_f32 v[0:1], v[126:127], v[10:11]
	scratch_store_dwordx2 off, v[0:1], off offset:24 ; 8-byte Folded Spill
	scratch_load_dwordx2 v[0:1], off, off offset:16 ; 8-byte Folded Reload
	ds_read_b128 v[8:11], v53 offset:1472
	;; [unrolled: 6-line block ×3, first 2 shown]
	s_waitcnt vmcnt(0) lgkmcnt(0)
	v_pk_mul_f32 v[20:21], v[0:1], v[8:9]
	v_pk_mul_f32 v[0:1], v[122:123], v[10:11]
	scratch_store_dwordx2 off, v[0:1], off offset:8 ; 8-byte Folded Spill
	scratch_load_dwordx2 v[0:1], off, off   ; 8-byte Folded Reload
	ds_read_b128 v[8:11], v53 offset:1504
	s_waitcnt lgkmcnt(0)
	v_pk_mul_f32 v[16:17], v[30:31], v[8:9]
	scratch_load_dwordx2 v[30:31], off, off offset:168 ; 8-byte Folded Reload
	s_waitcnt vmcnt(1)
	v_pk_mul_f32 v[0:1], v[0:1], v[10:11]
	scratch_store_dwordx2 off, v[0:1], off  ; 8-byte Folded Spill
	ds_read_b128 v[0:3], v53 offset:1520
	s_waitcnt lgkmcnt(0)
	v_pk_mul_f32 v[8:9], v[4:5], v[0:1]
	v_lshl_add_u64 v[0:1], s[2:3], 0, v[6:7]
	v_pk_mul_f32 v[12:13], v[50:51], v[2:3]
	global_load_dword v50, v[0:1], off
	scratch_load_dwordx2 v[4:5], off, off offset:136 ; 8-byte Folded Reload
	ds_read_b128 v[0:3], v53
	s_waitcnt vmcnt(0) lgkmcnt(0)
	v_pk_fma_f32 v[4:5], v[50:51], v[0:1], v[4:5] op_sel_hi:[0,1,1]
	scratch_load_dwordx2 v[0:1], off, off offset:88 ; 8-byte Folded Reload
	s_waitcnt vmcnt(0)
	v_pk_fma_f32 v[10:11], v[50:51], v[2:3], v[0:1] op_sel_hi:[0,1,1]
	ds_read_b128 v[0:3], v53 offset:16
	scratch_store_dwordx2 off, v[4:5], off offset:184 ; 8-byte Folded Spill
	scratch_store_dwordx2 off, v[10:11], off offset:176 ; 8-byte Folded Spill
	s_waitcnt lgkmcnt(0)
	v_pk_fma_f32 v[14:15], v[50:51], v[0:1], v[48:49] op_sel_hi:[0,1,1]
	scratch_load_dwordx2 v[0:1], off, off offset:144 ; 8-byte Folded Reload
	s_waitcnt vmcnt(0)
	v_pk_fma_f32 v[18:19], v[50:51], v[2:3], v[0:1] op_sel_hi:[0,1,1]
	ds_read_b128 v[0:3], v53 offset:32
	scratch_store_dwordx2 off, v[14:15], off offset:136 ; 8-byte Folded Spill
	s_waitcnt lgkmcnt(0)
	v_pk_fma_f32 v[124:125], v[50:51], v[0:1], v[124:125] op_sel_hi:[0,1,1]
	scratch_load_dwordx2 v[0:1], off, off offset:152 ; 8-byte Folded Reload
	s_waitcnt vmcnt(0)
	v_pk_fma_f32 v[48:49], v[50:51], v[2:3], v[0:1] op_sel_hi:[0,1,1]
	ds_read_b128 v[0:3], v53 offset:48
	s_waitcnt lgkmcnt(0)
	v_pk_fma_f32 v[126:127], v[50:51], v[0:1], v[30:31] op_sel_hi:[0,1,1]
	v_pk_fma_f32 v[56:57], v[50:51], v[2:3], v[56:57] op_sel_hi:[0,1,1]
	ds_read_b128 v[0:3], v53 offset:64
	s_waitcnt lgkmcnt(0)
	v_pk_fma_f32 v[120:121], v[50:51], v[0:1], v[38:39] op_sel_hi:[0,1,1]
	;; [unrolled: 4-line block ×3, first 2 shown]
	v_pk_fma_f32 v[0:1], v[50:51], v[2:3], v[112:113] op_sel_hi:[0,1,1]
	scratch_store_dwordx2 off, v[0:1], off offset:152 ; 8-byte Folded Spill
	ds_read_b128 v[0:3], v53 offset:96
	s_waitcnt lgkmcnt(0)
	v_pk_fma_f32 v[0:1], v[50:51], v[0:1], v[108:109] op_sel_hi:[0,1,1]
	scratch_store_dwordx2 off, v[0:1], off offset:144 ; 8-byte Folded Spill
	v_pk_fma_f32 v[122:123], v[50:51], v[2:3], v[110:111] op_sel_hi:[0,1,1]
	ds_read_b128 v[0:3], v53 offset:112
	s_waitcnt lgkmcnt(0)
	v_pk_fma_f32 v[110:111], v[50:51], v[0:1], v[106:107] op_sel_hi:[0,1,1]
	v_pk_fma_f32 v[112:113], v[50:51], v[2:3], v[104:105] op_sel_hi:[0,1,1]
	ds_read_b128 v[0:3], v53 offset:128
	s_waitcnt lgkmcnt(0)
	v_pk_fma_f32 v[108:109], v[50:51], v[0:1], v[114:115] op_sel_hi:[0,1,1]
	;; [unrolled: 4-line block ×9, first 2 shown]
	scratch_load_dwordx2 v[22:23], off, off offset:96 ; 8-byte Folded Reload
	v_pk_fma_f32 v[82:83], v[50:51], v[2:3], v[70:71] op_sel_hi:[0,1,1]
	ds_read_b128 v[0:3], v53 offset:256
	s_waitcnt lgkmcnt(0)
	v_pk_fma_f32 v[76:77], v[50:51], v[0:1], v[68:69] op_sel_hi:[0,1,1]
	v_pk_fma_f32 v[78:79], v[50:51], v[2:3], v[66:67] op_sel_hi:[0,1,1]
	ds_read_b128 v[0:3], v53 offset:272
	scratch_store_dwordx2 off, v[76:77], off offset:72 ; 8-byte Folded Spill
	s_waitcnt lgkmcnt(0)
	v_pk_fma_f32 v[72:73], v[50:51], v[0:1], v[64:65] op_sel_hi:[0,1,1]
	v_pk_fma_f32 v[74:75], v[50:51], v[2:3], v[62:63] op_sel_hi:[0,1,1]
	ds_read_b128 v[0:3], v53 offset:288
	scratch_store_dwordx2 off, v[74:75], off offset:80 ; 8-byte Folded Spill
	s_waitcnt lgkmcnt(0)
	v_pk_fma_f32 v[70:71], v[50:51], v[2:3], v[60:61] op_sel_hi:[0,1,1]
	s_waitcnt vmcnt(2)
	v_pk_fma_f32 v[68:69], v[50:51], v[0:1], v[22:23] op_sel_hi:[0,1,1]
	scratch_load_dwordx2 v[22:23], off, off offset:104 ; 8-byte Folded Reload
	ds_read_b128 v[0:3], v53 offset:304
	s_waitcnt vmcnt(0) lgkmcnt(0)
	v_pk_fma_f32 v[64:65], v[50:51], v[0:1], v[22:23] op_sel_hi:[0,1,1]
	scratch_load_dwordx2 v[0:1], off, off offset:112 ; 8-byte Folded Reload
	scratch_load_dwordx2 v[22:23], off, off offset:120 ; 8-byte Folded Reload
	s_waitcnt vmcnt(1)
	v_pk_fma_f32 v[66:67], v[50:51], v[2:3], v[0:1] op_sel_hi:[0,1,1]
	ds_read_b128 v[0:3], v53 offset:320
	s_waitcnt vmcnt(0) lgkmcnt(0)
	v_pk_fma_f32 v[60:61], v[50:51], v[0:1], v[22:23] op_sel_hi:[0,1,1]
	scratch_load_dwordx2 v[0:1], off, off offset:128 ; 8-byte Folded Reload
	s_waitcnt vmcnt(0)
	v_pk_fma_f32 v[62:63], v[50:51], v[2:3], v[0:1] op_sel_hi:[0,1,1]
	ds_read_b128 v[0:3], v53 offset:336
	s_waitcnt lgkmcnt(0)
	v_pk_fma_f32 v[54:55], v[50:51], v[0:1], v[54:55] op_sel_hi:[0,1,1]
	v_pk_fma_f32 v[46:47], v[50:51], v[2:3], v[46:47] op_sel_hi:[0,1,1]
	ds_read_b128 v[0:3], v53 offset:352
	s_waitcnt lgkmcnt(0)
	v_pk_fma_f32 v[58:59], v[50:51], v[0:1], v[58:59] op_sel_hi:[0,1,1]
	scratch_load_dwordx2 v[0:1], off, off offset:64 ; 8-byte Folded Reload
	s_waitcnt vmcnt(0)
	v_pk_fma_f32 v[42:43], v[50:51], v[2:3], v[0:1] op_sel_hi:[0,1,1]
	ds_read_b128 v[0:3], v53 offset:368
	scratch_store_dwordx2 off, v[58:59], off offset:64 ; 8-byte Folded Spill
	s_waitcnt lgkmcnt(0)
	v_pk_fma_f32 v[44:45], v[50:51], v[0:1], v[44:45] op_sel_hi:[0,1,1]
	scratch_load_dwordx2 v[0:1], off, off offset:56 ; 8-byte Folded Reload
	s_waitcnt vmcnt(0)
	v_pk_fma_f32 v[38:39], v[50:51], v[2:3], v[0:1] op_sel_hi:[0,1,1]
	ds_read_b128 v[0:3], v53 offset:384
	scratch_store_dwordx2 off, v[44:45], off offset:56 ; 8-byte Folded Spill
	;; [unrolled: 7-line block ×4, first 2 shown]
	s_waitcnt lgkmcnt(0)
	v_pk_fma_f32 v[32:33], v[50:51], v[0:1], v[32:33] op_sel_hi:[0,1,1]
	scratch_load_dwordx2 v[0:1], off, off offset:32 ; 8-byte Folded Reload
	s_waitcnt vmcnt(0)
	v_pk_fma_f32 v[26:27], v[50:51], v[2:3], v[0:1] op_sel_hi:[0,1,1]
	ds_read_b128 v[0:3], v53 offset:432
	s_waitcnt lgkmcnt(0)
	v_pk_fma_f32 v[28:29], v[50:51], v[0:1], v[28:29] op_sel_hi:[0,1,1]
	scratch_load_dwordx2 v[0:1], off, off offset:24 ; 8-byte Folded Reload
	s_waitcnt vmcnt(0)
	v_pk_fma_f32 v[22:23], v[50:51], v[2:3], v[0:1] op_sel_hi:[0,1,1]
	ds_read_b128 v[0:3], v53 offset:448
	s_waitcnt lgkmcnt(0)
	v_pk_fma_f32 v[24:25], v[50:51], v[0:1], v[24:25] op_sel_hi:[0,1,1]
	scratch_load_dwordx2 v[0:1], off, off offset:16 ; 8-byte Folded Reload
	s_waitcnt vmcnt(0)
	v_pk_fma_f32 v[0:1], v[50:51], v[2:3], v[0:1] op_sel_hi:[0,1,1]
	scratch_store_dwordx2 off, v[0:1], off offset:88 ; 8-byte Folded Spill
	ds_read_b128 v[0:3], v53 offset:464
	s_waitcnt lgkmcnt(0)
	v_pk_fma_f32 v[20:21], v[50:51], v[0:1], v[20:21] op_sel_hi:[0,1,1]
	scratch_load_dwordx2 v[0:1], off, off offset:8 ; 8-byte Folded Reload
	s_waitcnt vmcnt(0)
	v_pk_fma_f32 v[0:1], v[50:51], v[2:3], v[0:1] op_sel_hi:[0,1,1]
	scratch_store_dwordx2 off, v[0:1], off offset:104 ; 8-byte Folded Spill
	ds_read_b128 v[0:3], v53 offset:480
	s_waitcnt lgkmcnt(0)
	v_pk_fma_f32 v[0:1], v[50:51], v[0:1], v[16:17] op_sel_hi:[0,1,1]
	scratch_store_dwordx2 off, v[0:1], off offset:96 ; 8-byte Folded Spill
	scratch_load_dwordx2 v[0:1], off, off   ; 8-byte Folded Reload
	s_waitcnt vmcnt(0)
	v_pk_fma_f32 v[16:17], v[50:51], v[2:3], v[0:1] op_sel_hi:[0,1,1]
	ds_read_b128 v[0:3], v53 offset:496
	s_waitcnt lgkmcnt(0)
	v_pk_fma_f32 v[8:9], v[50:51], v[0:1], v[8:9] op_sel_hi:[0,1,1]
	v_pk_fma_f32 v[50:51], v[50:51], v[2:3], v[12:13] op_sel_hi:[0,1,1]
	ds_read_b128 v[0:3], v53 offset:512
	scratch_load_dwordx2 v[12:13], off, off offset:152 ; 8-byte Folded Reload
	s_waitcnt lgkmcnt(0)
	v_fma_f32 v0, v4, v0, 0
	v_fmac_f32_e32 v0, v5, v1
	v_fmac_f32_e32 v0, v10, v2
	;; [unrolled: 1-line block ×3, first 2 shown]
	ds_read_b128 v[2:5], v53 offset:528
	s_waitcnt lgkmcnt(0)
	v_fmac_f32_e32 v0, v14, v2
	v_fmac_f32_e32 v0, v15, v3
	;; [unrolled: 1-line block ×4, first 2 shown]
	ds_read_b128 v[2:5], v53 offset:544
	v_mov_b64_e32 v[14:15], v[120:121]
	s_waitcnt lgkmcnt(0)
	v_fmac_f32_e32 v0, v124, v2
	v_fmac_f32_e32 v0, v125, v3
	;; [unrolled: 1-line block ×4, first 2 shown]
	ds_read_b128 v[2:5], v53 offset:560
	s_waitcnt lgkmcnt(0)
	v_fmac_f32_e32 v0, v126, v2
	v_fmac_f32_e32 v0, v127, v3
	v_fmac_f32_e32 v0, v56, v4
	v_fmac_f32_e32 v0, v57, v5
	ds_read_b128 v[2:5], v53 offset:576
	s_waitcnt lgkmcnt(0)
	v_fmac_f32_e32 v0, v120, v2
	v_fmac_f32_e32 v0, v121, v3
	scratch_load_dwordx2 v[120:121], off, off offset:144 ; 8-byte Folded Reload
	v_fmac_f32_e32 v0, v96, v4
	v_fmac_f32_e32 v0, v97, v5
	ds_read_b128 v[2:5], v53 offset:592
	s_waitcnt lgkmcnt(0)
	v_fmac_f32_e32 v0, v118, v2
	v_fmac_f32_e32 v0, v119, v3
	s_waitcnt vmcnt(1)
	v_fmac_f32_e32 v0, v12, v4
	v_fmac_f32_e32 v0, v13, v5
	ds_read_b128 v[2:5], v53 offset:608
	s_waitcnt vmcnt(0) lgkmcnt(0)
	v_fmac_f32_e32 v0, v120, v2
	v_fmac_f32_e32 v0, v121, v3
	;; [unrolled: 1-line block ×4, first 2 shown]
	ds_read_b128 v[2:5], v53 offset:624
	v_mov_b64_e32 v[10:11], v[120:121]
	v_mov_b64_e32 v[120:121], v[46:47]
	s_waitcnt lgkmcnt(0)
	v_fmac_f32_e32 v0, v110, v2
	v_fmac_f32_e32 v0, v111, v3
	v_fmac_f32_e32 v0, v112, v4
	v_fmac_f32_e32 v0, v113, v5
	ds_read_b128 v[2:5], v53 offset:640
	s_waitcnt lgkmcnt(0)
	v_fmac_f32_e32 v0, v108, v2
	v_fmac_f32_e32 v0, v109, v3
	v_fmac_f32_e32 v0, v114, v4
	v_fmac_f32_e32 v0, v115, v5
	ds_read_b128 v[2:5], v53 offset:656
	;; [unrolled: 6-line block ×10, first 2 shown]
	v_mov_b64_e32 v[76:77], v[54:55]
	s_waitcnt lgkmcnt(0)
	v_fmac_f32_e32 v0, v72, v2
	v_fmac_f32_e32 v0, v73, v3
	;; [unrolled: 1-line block ×4, first 2 shown]
	ds_read_b128 v[2:5], v53 offset:800
	v_mov_b64_e32 v[74:75], v[38:39]
	s_waitcnt lgkmcnt(0)
	v_fmac_f32_e32 v0, v68, v2
	v_fmac_f32_e32 v0, v69, v3
	v_fmac_f32_e32 v0, v70, v4
	v_fmac_f32_e32 v0, v71, v5
	ds_read_b128 v[2:5], v53 offset:816
	s_waitcnt lgkmcnt(0)
	v_fmac_f32_e32 v0, v64, v2
	v_fmac_f32_e32 v0, v65, v3
	v_fmac_f32_e32 v0, v66, v4
	v_fmac_f32_e32 v0, v67, v5
	ds_read_b128 v[2:5], v53 offset:832
	;; [unrolled: 6-line block ×4, first 2 shown]
	v_mov_b64_e32 v[54:55], v[90:91]
	v_mov_b64_e32 v[90:91], v[110:111]
	v_mov_b64_e32 v[110:111], v[122:123]
	v_mov_b64_e32 v[46:47], v[94:95]
	s_waitcnt lgkmcnt(0)
	v_fmac_f32_e32 v0, v58, v2
	v_fmac_f32_e32 v0, v59, v3
	v_fmac_f32_e32 v0, v42, v4
	v_fmac_f32_e32 v0, v43, v5
	ds_read_b128 v[2:5], v53 offset:880
	v_mov_b64_e32 v[58:59], v[106:107]
	v_mov_b64_e32 v[106:107], v[126:127]
	v_mov_b64_e32 v[94:95], v[42:43]
	v_mov_b64_e32 v[42:43], v[26:27]
	s_waitcnt lgkmcnt(0)
	v_fmac_f32_e32 v0, v44, v2
	v_fmac_f32_e32 v0, v45, v3
	v_fmac_f32_e32 v0, v38, v4
	v_fmac_f32_e32 v0, v39, v5
	ds_read_b128 v[2:5], v53 offset:896
	;; [unrolled: 10-line block ×3, first 2 shown]
	scratch_load_dwordx2 v[48:49], off, off offset:184 ; 8-byte Folded Reload
	scratch_load_dwordx2 v[122:123], off, off offset:104 ; 8-byte Folded Reload
	v_mov_b64_e32 v[40:41], v[72:73]
	scratch_store_dwordx2 off, v[24:25], off offset:16 ; 8-byte Folded Spill
	scratch_store_dwordx2 off, v[16:17], off ; 8-byte Folded Spill
	s_waitcnt lgkmcnt(0)
	v_fmac_f32_e32 v0, v36, v2
	v_fmac_f32_e32 v0, v37, v3
	;; [unrolled: 1-line block ×4, first 2 shown]
	ds_read_b128 v[2:5], v53 offset:928
	v_mov_b64_e32 v[36:37], v[70:71]
	v_mov_b64_e32 v[70:71], v[88:89]
	;; [unrolled: 1-line block ×4, first 2 shown]
	s_waitcnt lgkmcnt(0)
	v_fmac_f32_e32 v0, v32, v2
	v_fmac_f32_e32 v0, v33, v3
	;; [unrolled: 1-line block ×4, first 2 shown]
	ds_read_b128 v[2:5], v53 offset:944
	v_mov_b64_e32 v[56:57], v[124:125]
	scratch_load_dwordx2 v[30:31], off, off offset:96 ; 8-byte Folded Reload
	scratch_load_dwordx2 v[124:125], off, off offset:176 ; 8-byte Folded Reload
	v_mov_b64_e32 v[72:73], v[34:35]
	s_waitcnt lgkmcnt(0)
	v_fmac_f32_e32 v0, v28, v2
	v_fmac_f32_e32 v0, v29, v3
	;; [unrolled: 1-line block ×4, first 2 shown]
	ds_read_b128 v[2:5], v53 offset:960
	scratch_store_dwordx2 off, v[32:33], off offset:32 ; 8-byte Folded Spill
	v_mov_b64_e32 v[32:33], v[68:69]
	v_mov_b64_e32 v[68:69], v[86:87]
	;; [unrolled: 1-line block ×3, first 2 shown]
	s_waitcnt lgkmcnt(0)
	v_fmac_f32_e32 v0, v24, v2
	v_fmac_f32_e32 v0, v25, v3
	v_mov_b64_e32 v[24:25], v[64:65]
	v_mov_b64_e32 v[64:65], v[82:83]
	;; [unrolled: 1-line block ×5, first 2 shown]
	scratch_load_dwordx2 v[18:19], off, off offset:88 ; 8-byte Folded Reload
	v_mov_b64_e32 v[98:99], v[118:119]
	v_mov_b64_e32 v[118:119], v[96:97]
	scratch_store_dwordx2 off, v[28:29], off offset:24 ; 8-byte Folded Spill
	v_mov_b64_e32 v[28:29], v[66:67]
	v_mov_b64_e32 v[66:67], v[84:85]
	;; [unrolled: 1-line block ×4, first 2 shown]
	scratch_store_dwordx2 off, v[20:21], off offset:8 ; 8-byte Folded Spill
	v_mov_b64_e32 v[96:97], v[10:11]
	v_mov_b64_e32 v[10:11], v[8:9]
	s_waitcnt vmcnt(2)
	v_fmac_f32_e32 v0, v18, v4
	v_fmac_f32_e32 v0, v19, v5
	ds_read_b128 v[2:5], v53 offset:976
	s_waitcnt lgkmcnt(0)
	v_fmac_f32_e32 v0, v20, v2
	v_fmac_f32_e32 v0, v21, v3
	;; [unrolled: 1-line block ×4, first 2 shown]
	ds_read_b128 v[2:5], v53 offset:992
	v_mov_b64_e32 v[20:21], v[62:63]
	v_mov_b64_e32 v[62:63], v[80:81]
	;; [unrolled: 1-line block ×3, first 2 shown]
	s_waitcnt lgkmcnt(0)
	v_fmac_f32_e32 v0, v30, v2
	v_fmac_f32_e32 v0, v31, v3
	;; [unrolled: 1-line block ×4, first 2 shown]
	ds_read_b128 v[2:5], v53 offset:1008
	v_mov_b64_e32 v[16:17], v[60:61]
	v_mov_b64_e32 v[60:61], v[78:79]
	;; [unrolled: 1-line block ×3, first 2 shown]
	scratch_load_dwordx2 v[116:117], off, off offset:136 ; 8-byte Folded Reload
	s_waitcnt lgkmcnt(0)
	v_fmac_f32_e32 v0, v8, v2
	v_fmac_f32_e32 v0, v9, v3
	;; [unrolled: 1-line block ×4, first 2 shown]
	v_mul_f32_e32 v2, s12, v0
	v_lshl_add_u64 v[0:1], s[10:11], 0, v[6:7]
	global_store_dword v[0:1], v2, off
	scratch_load_dword v0, off, off offset:192 ; 4-byte Folded Reload
	v_mov_b64_e32 v[8:9], v[50:51]
	v_lshl_add_u64 v[6:7], v[6:7], 0, s[18:19]
	s_waitcnt vmcnt(0)
	v_cmp_ge_i32_e32 vcc, v52, v0
	s_or_b64 s[16:17], vcc, s[16:17]
	s_andn2_b64 exec, exec, s[16:17]
	s_cbranch_execnz .LBB1_2
; %bb.3:
	s_or_b64 exec, exec, s[16:17]
	scratch_load_dwordx2 v[2:3], off, off offset:208 ; 8-byte Folded Reload
.LBB1_4:
	s_or_b64 exec, exec, s[8:9]
	s_mul_i32 s0, s14, s13
	s_waitcnt vmcnt(0)
	v_add_u32_e32 v4, s0, v2
	v_ashrrev_i32_e32 v5, 31, v4
	v_lshl_add_u64 v[0:1], v[4:5], 2, s[10:11]
	global_store_dword v[0:1], v48, off
	global_store_dword v[0:1], v49, off offset:512
	global_store_dword v[0:1], v124, off offset:1024
	;; [unrolled: 1-line block ×7, first 2 shown]
	v_add_u32_e32 v0, 0x400, v4
	v_ashrrev_i32_e32 v1, 31, v0
	v_lshl_add_u64 v[0:1], v[0:1], 2, s[10:11]
	global_store_dword v[0:1], v56, off
	v_add_u32_e32 v0, 0x480, v4
	v_ashrrev_i32_e32 v1, 31, v0
	v_lshl_add_u64 v[0:1], v[0:1], 2, s[10:11]
	global_store_dword v[0:1], v57, off
	;; [unrolled: 4-line block ×30, first 2 shown]
	v_add_u32_e32 v0, 0x1300, v4
	v_ashrrev_i32_e32 v1, 31, v0
	scratch_load_dwordx2 v[2:3], off, off offset:72 ; 8-byte Folded Reload
	v_lshl_add_u64 v[0:1], v[0:1], 2, s[10:11]
	global_store_dword v[0:1], v84, off
	v_add_u32_e32 v0, 0x1380, v4
	v_ashrrev_i32_e32 v1, 31, v0
	v_lshl_add_u64 v[0:1], v[0:1], 2, s[10:11]
	global_store_dword v[0:1], v85, off
	v_add_u32_e32 v0, 0x1400, v4
	v_ashrrev_i32_e32 v1, 31, v0
	;; [unrolled: 4-line block ×26, first 2 shown]
	v_lshl_add_u64 v[0:1], v[0:1], 2, s[10:11]
	s_waitcnt vmcnt(26)
	global_store_dword v[0:1], v2, off
	v_add_u32_e32 v0, 0x2080, v4
	v_ashrrev_i32_e32 v1, 31, v0
	v_lshl_add_u64 v[0:1], v[0:1], 2, s[10:11]
	global_store_dword v[0:1], v3, off
	scratch_load_dwordx2 v[2:3], off, off offset:80 ; 8-byte Folded Reload
	v_add_u32_e32 v0, 0x2100, v4
	v_ashrrev_i32_e32 v1, 31, v0
	v_lshl_add_u64 v[0:1], v[0:1], 2, s[10:11]
	global_store_dword v[0:1], v60, off
	v_add_u32_e32 v0, 0x2180, v4
	v_ashrrev_i32_e32 v1, 31, v0
	v_lshl_add_u64 v[0:1], v[0:1], 2, s[10:11]
	global_store_dword v[0:1], v61, off
	;; [unrolled: 4-line block ×4, first 2 shown]
	v_add_u32_e32 v0, 0x2300, v4
	v_ashrrev_i32_e32 v1, 31, v0
	v_lshl_add_u64 v[0:1], v[0:1], 2, s[10:11]
	s_waitcnt vmcnt(4)
	global_store_dword v[0:1], v2, off
	v_add_u32_e32 v0, 0x2380, v4
	v_ashrrev_i32_e32 v1, 31, v0
	v_lshl_add_u64 v[0:1], v[0:1], 2, s[10:11]
	global_store_dword v[0:1], v3, off
	scratch_load_dwordx2 v[2:3], off, off offset:64 ; 8-byte Folded Reload
	v_add_u32_e32 v0, 0x2400, v4
	v_ashrrev_i32_e32 v1, 31, v0
	v_lshl_add_u64 v[0:1], v[0:1], 2, s[10:11]
	global_store_dword v[0:1], v32, off
	v_add_u32_e32 v0, 0x2480, v4
	v_ashrrev_i32_e32 v1, 31, v0
	v_lshl_add_u64 v[0:1], v[0:1], 2, s[10:11]
	global_store_dword v[0:1], v33, off
	;; [unrolled: 4-line block ×16, first 2 shown]
	v_add_u32_e32 v0, 0x2c00, v4
	v_ashrrev_i32_e32 v1, 31, v0
	v_lshl_add_u64 v[0:1], v[0:1], 2, s[10:11]
	s_waitcnt vmcnt(16)
	global_store_dword v[0:1], v2, off
	v_add_u32_e32 v0, 0x2c80, v4
	v_ashrrev_i32_e32 v1, 31, v0
	v_lshl_add_u64 v[0:1], v[0:1], 2, s[10:11]
	global_store_dword v[0:1], v3, off
	scratch_load_dwordx2 v[2:3], off, off offset:56 ; 8-byte Folded Reload
	v_add_u32_e32 v0, 0x2d00, v4
	v_ashrrev_i32_e32 v1, 31, v0
	v_lshl_add_u64 v[0:1], v[0:1], 2, s[10:11]
	global_store_dword v[0:1], v94, off
	v_add_u32_e32 v0, 0x2d80, v4
	v_ashrrev_i32_e32 v1, 31, v0
	v_lshl_add_u64 v[0:1], v[0:1], 2, s[10:11]
	global_store_dword v[0:1], v95, off
	v_add_u32_e32 v0, 0x2e00, v4
	v_ashrrev_i32_e32 v1, 31, v0
	v_lshl_add_u64 v[0:1], v[0:1], 2, s[10:11]
	s_waitcnt vmcnt(2)
	global_store_dword v[0:1], v2, off
	v_add_u32_e32 v0, 0x2e80, v4
	v_ashrrev_i32_e32 v1, 31, v0
	v_lshl_add_u64 v[0:1], v[0:1], 2, s[10:11]
	global_store_dword v[0:1], v3, off
	scratch_load_dwordx2 v[2:3], off, off offset:48 ; 8-byte Folded Reload
	v_add_u32_e32 v0, 0x2f00, v4
	v_ashrrev_i32_e32 v1, 31, v0
	v_lshl_add_u64 v[0:1], v[0:1], 2, s[10:11]
	global_store_dword v[0:1], v74, off
	v_add_u32_e32 v0, 0x2f80, v4
	v_ashrrev_i32_e32 v1, 31, v0
	v_lshl_add_u64 v[0:1], v[0:1], 2, s[10:11]
	global_store_dword v[0:1], v75, off
	;; [unrolled: 18-line block ×7, first 2 shown]
	v_add_u32_e32 v0, 0x3a00, v4
	v_ashrrev_i32_e32 v1, 31, v0
	v_lshl_add_u64 v[0:1], v[0:1], 2, s[10:11]
	s_waitcnt vmcnt(2)
	global_store_dword v[0:1], v2, off
	v_add_u32_e32 v0, 0x3a80, v4
	v_ashrrev_i32_e32 v1, 31, v0
	v_lshl_add_u64 v[0:1], v[0:1], 2, s[10:11]
	global_store_dword v[0:1], v3, off
	scratch_load_dwordx2 v[2:3], off, off   ; 8-byte Folded Reload
	v_add_u32_e32 v0, 0x3b00, v4
	v_ashrrev_i32_e32 v1, 31, v0
	v_lshl_add_u64 v[0:1], v[0:1], 2, s[10:11]
	global_store_dword v[0:1], v122, off
	v_add_u32_e32 v0, 0x3b80, v4
	v_ashrrev_i32_e32 v1, 31, v0
	v_lshl_add_u64 v[0:1], v[0:1], 2, s[10:11]
	global_store_dword v[0:1], v123, off
	;; [unrolled: 4-line block ×4, first 2 shown]
	v_add_u32_e32 v0, 0x3d00, v4
	v_ashrrev_i32_e32 v1, 31, v0
	v_lshl_add_u64 v[0:1], v[0:1], 2, s[10:11]
	s_waitcnt vmcnt(4)
	global_store_dword v[0:1], v2, off
	v_add_u32_e32 v0, 0x3d80, v4
	v_ashrrev_i32_e32 v1, 31, v0
	v_lshl_add_u64 v[0:1], v[0:1], 2, s[10:11]
	global_store_dword v[0:1], v3, off
	v_add_u32_e32 v0, 0x3e00, v4
	v_ashrrev_i32_e32 v1, 31, v0
	v_lshl_add_u64 v[0:1], v[0:1], 2, s[10:11]
	;; [unrolled: 4-line block ×5, first 2 shown]
	global_store_dword v[0:1], v9, off
	s_endpgm
	.section	.rodata,"a",@progbits
	.p2align	6, 0x0
	.amdhsa_kernel _ZL21gated_linear_attn_f32ILi128EEviiiifPKfS1_S1_S1_S1_Pf
		.amdhsa_group_segment_fixed_size 1536
		.amdhsa_private_segment_fixed_size 220
		.amdhsa_kernarg_size 72
		.amdhsa_user_sgpr_count 2
		.amdhsa_user_sgpr_dispatch_ptr 0
		.amdhsa_user_sgpr_queue_ptr 0
		.amdhsa_user_sgpr_kernarg_segment_ptr 1
		.amdhsa_user_sgpr_dispatch_id 0
		.amdhsa_user_sgpr_kernarg_preload_length 0
		.amdhsa_user_sgpr_kernarg_preload_offset 0
		.amdhsa_user_sgpr_private_segment_size 0
		.amdhsa_uses_dynamic_stack 0
		.amdhsa_enable_private_segment 1
		.amdhsa_system_sgpr_workgroup_id_x 1
		.amdhsa_system_sgpr_workgroup_id_y 0
		.amdhsa_system_sgpr_workgroup_id_z 0
		.amdhsa_system_sgpr_workgroup_info 0
		.amdhsa_system_vgpr_workitem_id 0
		.amdhsa_next_free_vgpr 128
		.amdhsa_next_free_sgpr 20
		.amdhsa_accum_offset 128
		.amdhsa_reserve_vcc 1
		.amdhsa_float_round_mode_32 0
		.amdhsa_float_round_mode_16_64 0
		.amdhsa_float_denorm_mode_32 3
		.amdhsa_float_denorm_mode_16_64 3
		.amdhsa_dx10_clamp 1
		.amdhsa_ieee_mode 1
		.amdhsa_fp16_overflow 0
		.amdhsa_tg_split 0
		.amdhsa_exception_fp_ieee_invalid_op 0
		.amdhsa_exception_fp_denorm_src 0
		.amdhsa_exception_fp_ieee_div_zero 0
		.amdhsa_exception_fp_ieee_overflow 0
		.amdhsa_exception_fp_ieee_underflow 0
		.amdhsa_exception_fp_ieee_inexact 0
		.amdhsa_exception_int_div_zero 0
	.end_amdhsa_kernel
	.section	.text._ZL21gated_linear_attn_f32ILi128EEviiiifPKfS1_S1_S1_S1_Pf,"axG",@progbits,_ZL21gated_linear_attn_f32ILi128EEviiiifPKfS1_S1_S1_S1_Pf,comdat
.Lfunc_end1:
	.size	_ZL21gated_linear_attn_f32ILi128EEviiiifPKfS1_S1_S1_S1_Pf, .Lfunc_end1-_ZL21gated_linear_attn_f32ILi128EEviiiifPKfS1_S1_S1_S1_Pf
                                        ; -- End function
	.section	.AMDGPU.csdata,"",@progbits
; Kernel info:
; codeLenInByte = 11400
; NumSgprs: 26
; NumVgprs: 128
; NumAgprs: 0
; TotalNumVgprs: 128
; ScratchSize: 220
; MemoryBound: 0
; FloatMode: 240
; IeeeMode: 1
; LDSByteSize: 1536 bytes/workgroup (compile time only)
; SGPRBlocks: 3
; VGPRBlocks: 15
; NumSGPRsForWavesPerEU: 26
; NumVGPRsForWavesPerEU: 128
; AccumOffset: 128
; Occupancy: 4
; WaveLimiterHint : 1
; COMPUTE_PGM_RSRC2:SCRATCH_EN: 1
; COMPUTE_PGM_RSRC2:USER_SGPR: 2
; COMPUTE_PGM_RSRC2:TRAP_HANDLER: 0
; COMPUTE_PGM_RSRC2:TGID_X_EN: 1
; COMPUTE_PGM_RSRC2:TGID_Y_EN: 0
; COMPUTE_PGM_RSRC2:TGID_Z_EN: 0
; COMPUTE_PGM_RSRC2:TIDIG_COMP_CNT: 0
; COMPUTE_PGM_RSRC3_GFX90A:ACCUM_OFFSET: 31
; COMPUTE_PGM_RSRC3_GFX90A:TG_SPLIT: 0
	.text
	.p2alignl 6, 3212836864
	.fill 256, 4, 3212836864
	.type	__hip_cuid_f16b45c98cdadcfe,@object ; @__hip_cuid_f16b45c98cdadcfe
	.section	.bss,"aw",@nobits
	.globl	__hip_cuid_f16b45c98cdadcfe
__hip_cuid_f16b45c98cdadcfe:
	.byte	0                               ; 0x0
	.size	__hip_cuid_f16b45c98cdadcfe, 1

	.ident	"AMD clang version 19.0.0git (https://github.com/RadeonOpenCompute/llvm-project roc-6.4.0 25133 c7fe45cf4b819c5991fe208aaa96edf142730f1d)"
	.section	".note.GNU-stack","",@progbits
	.addrsig
	.addrsig_sym __hip_cuid_f16b45c98cdadcfe
	.amdgpu_metadata
---
amdhsa.kernels:
  - .agpr_count:     0
    .args:
      - .offset:         0
        .size:           4
        .value_kind:     by_value
      - .offset:         4
        .size:           4
        .value_kind:     by_value
      - .offset:         8
        .size:           4
        .value_kind:     by_value
      - .offset:         12
        .size:           4
        .value_kind:     by_value
      - .offset:         16
        .size:           4
        .value_kind:     by_value
      - .address_space:  global
        .offset:         24
        .size:           8
        .value_kind:     global_buffer
      - .address_space:  global
        .offset:         32
        .size:           8
        .value_kind:     global_buffer
      - .address_space:  global
        .offset:         40
        .size:           8
        .value_kind:     global_buffer
      - .address_space:  global
        .offset:         48
        .size:           8
        .value_kind:     global_buffer
      - .address_space:  global
        .offset:         56
        .size:           8
        .value_kind:     global_buffer
      - .address_space:  global
        .offset:         64
        .size:           8
        .value_kind:     global_buffer
    .group_segment_fixed_size: 768
    .kernarg_segment_align: 8
    .kernarg_segment_size: 72
    .language:       OpenCL C
    .language_version:
      - 2
      - 0
    .max_flat_workgroup_size: 1024
    .name:           _ZL21gated_linear_attn_f32ILi64EEviiiifPKfS1_S1_S1_S1_Pf
    .private_segment_fixed_size: 0
    .sgpr_count:     26
    .sgpr_spill_count: 0
    .symbol:         _ZL21gated_linear_attn_f32ILi64EEviiiifPKfS1_S1_S1_S1_Pf.kd
    .uniform_work_group_size: 1
    .uses_dynamic_stack: false
    .vgpr_count:     92
    .vgpr_spill_count: 0
    .wavefront_size: 64
  - .agpr_count:     0
    .args:
      - .offset:         0
        .size:           4
        .value_kind:     by_value
      - .offset:         4
        .size:           4
        .value_kind:     by_value
      - .offset:         8
        .size:           4
        .value_kind:     by_value
      - .offset:         12
        .size:           4
        .value_kind:     by_value
      - .offset:         16
        .size:           4
        .value_kind:     by_value
      - .address_space:  global
        .offset:         24
        .size:           8
        .value_kind:     global_buffer
      - .address_space:  global
        .offset:         32
        .size:           8
        .value_kind:     global_buffer
      - .address_space:  global
        .offset:         40
        .size:           8
        .value_kind:     global_buffer
      - .address_space:  global
        .offset:         48
        .size:           8
        .value_kind:     global_buffer
      - .address_space:  global
        .offset:         56
        .size:           8
        .value_kind:     global_buffer
      - .address_space:  global
        .offset:         64
        .size:           8
        .value_kind:     global_buffer
    .group_segment_fixed_size: 1536
    .kernarg_segment_align: 8
    .kernarg_segment_size: 72
    .language:       OpenCL C
    .language_version:
      - 2
      - 0
    .max_flat_workgroup_size: 1024
    .name:           _ZL21gated_linear_attn_f32ILi128EEviiiifPKfS1_S1_S1_S1_Pf
    .private_segment_fixed_size: 220
    .sgpr_count:     26
    .sgpr_spill_count: 0
    .symbol:         _ZL21gated_linear_attn_f32ILi128EEviiiifPKfS1_S1_S1_S1_Pf.kd
    .uniform_work_group_size: 1
    .uses_dynamic_stack: false
    .vgpr_count:     128
    .vgpr_spill_count: 106
    .wavefront_size: 64
amdhsa.target:   amdgcn-amd-amdhsa--gfx942
amdhsa.version:
  - 1
  - 2
...

	.end_amdgpu_metadata
